;; amdgpu-corpus repo=ROCm/rocFFT kind=compiled arch=gfx950 opt=O3
	.text
	.amdgcn_target "amdgcn-amd-amdhsa--gfx950"
	.amdhsa_code_object_version 6
	.protected	fft_rtc_fwd_len112_factors_2_7_8_wgs_64_tpt_8_dim1_sp_op_CI_CI_unitstride_sbrr_C2R_dirReg ; -- Begin function fft_rtc_fwd_len112_factors_2_7_8_wgs_64_tpt_8_dim1_sp_op_CI_CI_unitstride_sbrr_C2R_dirReg
	.globl	fft_rtc_fwd_len112_factors_2_7_8_wgs_64_tpt_8_dim1_sp_op_CI_CI_unitstride_sbrr_C2R_dirReg
	.p2align	8
	.type	fft_rtc_fwd_len112_factors_2_7_8_wgs_64_tpt_8_dim1_sp_op_CI_CI_unitstride_sbrr_C2R_dirReg,@function
fft_rtc_fwd_len112_factors_2_7_8_wgs_64_tpt_8_dim1_sp_op_CI_CI_unitstride_sbrr_C2R_dirReg: ; @fft_rtc_fwd_len112_factors_2_7_8_wgs_64_tpt_8_dim1_sp_op_CI_CI_unitstride_sbrr_C2R_dirReg
; %bb.0:
	s_load_dwordx4 s[4:7], s[0:1], 0x18
	v_lshrrev_b32_e32 v1, 3, v0
	v_lshl_or_b32 v30, s2, 3, v1
	v_mov_b32_e32 v31, 0
	v_and_b32_e32 v28, 7, v0
	s_waitcnt lgkmcnt(0)
	v_cmp_gt_u64_e32 vcc, s[6:7], v[30:31]
	v_cmp_le_u64_e64 s[2:3], s[6:7], v[30:31]
	s_and_saveexec_b64 s[6:7], s[2:3]
	s_xor_b64 s[2:3], exec, s[6:7]
; %bb.1:
	v_and_b32_e32 v28, 7, v0
; %bb.2:
	s_or_saveexec_b64 s[10:11], s[2:3]
	s_load_dwordx2 s[8:9], s[0:1], 0x0
	s_load_dwordx2 s[6:7], s[4:5], 0x8
	v_mul_u32_u24_e32 v1, 0x71, v1
	v_lshlrev_b32_e32 v12, 3, v1
	s_xor_b64 exec, exec, s[10:11]
	s_cbranch_execz .LBB0_6
; %bb.3:
	s_load_dwordx2 s[2:3], s[0:1], 0x10
	v_lshlrev_b32_e32 v4, 3, v28
	v_mov_b32_e32 v5, 0
	s_waitcnt lgkmcnt(0)
	s_load_dwordx2 s[4:5], s[2:3], 0x8
	s_load_dwordx2 s[12:13], s[0:1], 0x50
	s_waitcnt lgkmcnt(0)
	v_mad_u64_u32 v[2:3], s[2:3], s4, v30, 0
	v_mov_b32_e32 v6, v3
	v_mad_u64_u32 v[6:7], s[2:3], s5, v30, v[6:7]
	v_mov_b32_e32 v3, v6
	v_lshl_add_u64 v[2:3], v[2:3], 3, s[12:13]
	v_lshl_add_u64 v[6:7], v[2:3], 0, v[4:5]
	global_load_dwordx2 v[8:9], v[6:7], off
	global_load_dwordx2 v[10:11], v[6:7], off offset:64
	global_load_dwordx2 v[14:15], v[6:7], off offset:128
	global_load_dwordx2 v[16:17], v[6:7], off offset:192
	global_load_dwordx2 v[18:19], v[6:7], off offset:256
	global_load_dwordx2 v[20:21], v[6:7], off offset:320
	global_load_dwordx2 v[22:23], v[6:7], off offset:384
	global_load_dwordx2 v[24:25], v[6:7], off offset:448
	global_load_dwordx2 v[26:27], v[6:7], off offset:512
	global_load_dwordx2 v[32:33], v[6:7], off offset:576
	global_load_dwordx2 v[34:35], v[6:7], off offset:640
	global_load_dwordx2 v[36:37], v[6:7], off offset:704
	global_load_dwordx2 v[38:39], v[6:7], off offset:768
	global_load_dwordx2 v[40:41], v[6:7], off offset:832
	v_add3_u32 v4, 0, v12, v4
	v_cmp_eq_u32_e64 s[2:3], 7, v28
	s_waitcnt vmcnt(12)
	ds_write2_b64 v4, v[8:9], v[10:11] offset1:8
	s_waitcnt vmcnt(10)
	ds_write2_b64 v4, v[14:15], v[16:17] offset0:16 offset1:24
	s_waitcnt vmcnt(8)
	ds_write2_b64 v4, v[18:19], v[20:21] offset0:32 offset1:40
	;; [unrolled: 2-line block ×6, first 2 shown]
	s_and_saveexec_b64 s[4:5], s[2:3]
	s_cbranch_execz .LBB0_5
; %bb.4:
	global_load_dwordx2 v[2:3], v[2:3], off offset:896
	v_mov_b32_e32 v28, 7
	s_waitcnt vmcnt(0)
	ds_write_b64 v4, v[2:3] offset:840
.LBB0_5:
	s_or_b64 exec, exec, s[4:5]
.LBB0_6:
	s_or_b64 exec, exec, s[10:11]
	v_lshl_add_u32 v31, v1, 3, 0
	v_lshlrev_b32_e32 v6, 3, v28
	v_add_u32_e32 v13, v31, v6
	s_waitcnt lgkmcnt(0)
	; wave barrier
	s_waitcnt lgkmcnt(0)
	v_sub_u32_e32 v1, v31, v6
	ds_read_b32 v3, v13
	ds_read_b32 v4, v1 offset:896
	v_cmp_ne_u32_e64 s[2:3], 0, v28
	s_waitcnt lgkmcnt(0)
	v_add_f32_e32 v2, v4, v3
	v_sub_f32_e32 v3, v3, v4
                                        ; implicit-def: $vgpr4_vgpr5
	s_and_saveexec_b64 s[4:5], s[2:3]
	s_xor_b64 s[2:3], exec, s[4:5]
	s_cbranch_execz .LBB0_8
; %bb.7:
	v_mov_b32_e32 v29, 0
	v_lshl_add_u64 v[4:5], v[28:29], 3, s[8:9]
	global_load_dwordx2 v[8:9], v[4:5], off offset:880
	ds_read_b32 v7, v1 offset:900
	ds_read_b32 v15, v13 offset:4
	v_mov_b32_e32 v10, v3
	v_mov_b32_e32 v14, v2
	v_mov_b32_e32 v17, v3
	v_mov_b64_e32 v[4:5], v[28:29]
	s_waitcnt lgkmcnt(0)
	v_add_f32_e32 v11, v7, v15
	v_sub_f32_e32 v15, v15, v7
	v_mov_b32_e32 v16, v11
	s_waitcnt vmcnt(0)
	v_pk_mul_f32 v[18:19], v[10:11], v[8:9] op_sel:[0,1]
	v_pk_fma_f32 v[10:11], v[10:11], v[8:9], v[14:15] op_sel:[0,1,0]
	v_mov_b32_e32 v3, v19
	v_mov_b32_e32 v19, v15
	v_pk_fma_f32 v[20:21], v[8:9], v[16:17], v[10:11] neg_lo:[1,0,0] neg_hi:[1,0,0]
	v_pk_fma_f32 v[10:11], v[8:9], v[16:17], v[10:11] op_sel_hi:[0,1,1]
	v_pk_add_f32 v[2:3], v[2:3], v[18:19] neg_lo:[0,1] neg_hi:[0,1]
	v_mov_b32_e32 v21, v11
	v_pk_fma_f32 v[2:3], v[8:9], v[16:17], v[2:3] op_sel_hi:[0,1,1]
	ds_write_b64 v1, v[2:3] offset:896
	v_mov_b64_e32 v[2:3], v[20:21]
.LBB0_8:
	s_andn2_saveexec_b64 s[2:3], s[2:3]
	s_cbranch_execz .LBB0_10
; %bb.9:
	ds_read_b64 v[4:5], v31 offset:448
	s_mov_b32 s4, 2.0
	s_mov_b32 s5, -2.0
	s_waitcnt lgkmcnt(0)
	v_pk_mul_f32 v[4:5], v[4:5], s[4:5]
	ds_write_b64 v31, v[4:5] offset:448
	v_mov_b64_e32 v[4:5], 0
.LBB0_10:
	s_or_b64 exec, exec, s[2:3]
	s_add_u32 s2, s8, 0x370
	s_addc_u32 s3, s9, 0
	v_lshl_add_u64 v[4:5], v[4:5], 3, s[2:3]
	global_load_dwordx2 v[8:9], v[4:5], off offset:64
	global_load_dwordx2 v[10:11], v[4:5], off offset:128
	;; [unrolled: 1-line block ×4, first 2 shown]
	ds_write_b64 v13, v[2:3]
	ds_read_b64 v[2:3], v1 offset:832
	ds_read_b64 v[18:19], v13 offset:64
	global_load_dwordx2 v[20:21], v[4:5], off offset:320
	v_or_b32_e32 v40, 8, v28
	v_add3_u32 v29, 0, v6, v12
	v_lshlrev_b32_e32 v7, 4, v28
	s_waitcnt lgkmcnt(0)
	v_pk_add_f32 v[22:23], v[18:19], v[2:3]
	v_pk_add_f32 v[2:3], v[18:19], v[2:3] neg_lo:[0,1] neg_hi:[0,1]
	v_mov_b32_e32 v18, v23
	v_mov_b32_e32 v19, v2
	;; [unrolled: 1-line block ×3, first 2 shown]
	v_add_u32_e32 v36, v29, v6
	v_lshlrev_b32_e32 v6, 4, v40
	v_add3_u32 v37, 0, v7, v12
	v_add3_u32 v38, 0, v6, v12
	s_mov_b32 s18, 0x3d64c772
	s_mov_b32 s4, 0x3eae86e6
	;; [unrolled: 1-line block ×11, first 2 shown]
	s_waitcnt vmcnt(4)
	v_pk_mul_f32 v[24:25], v[18:19], v[8:9] op_sel:[0,1]
	s_nop 0
	v_pk_add_f32 v[26:27], v[22:23], v[24:25] op_sel:[0,1] op_sel_hi:[1,0]
	v_mov_b32_e32 v23, v24
	v_mov_b32_e32 v2, v25
	v_pk_fma_f32 v[24:25], v[8:9], v[18:19], v[26:27] neg_lo:[1,0,0] neg_hi:[1,0,0]
	v_pk_fma_f32 v[26:27], v[8:9], v[18:19], v[26:27] op_sel_hi:[0,1,1]
	v_pk_add_f32 v[2:3], v[22:23], v[2:3] neg_lo:[0,1] neg_hi:[0,1]
	v_mov_b32_e32 v25, v27
	v_pk_fma_f32 v[2:3], v[8:9], v[18:19], v[2:3] op_sel_hi:[0,1,1]
	ds_write_b64 v13, v[24:25] offset:64
	ds_write_b64 v1, v[2:3] offset:832
	ds_read_b64 v[2:3], v1 offset:768
	ds_read_b64 v[8:9], v13 offset:128
	global_load_dwordx2 v[4:5], v[4:5], off offset:384
	s_waitcnt lgkmcnt(0)
	v_pk_add_f32 v[18:19], v[8:9], v[2:3]
	v_pk_add_f32 v[2:3], v[8:9], v[2:3] neg_lo:[0,1] neg_hi:[0,1]
	v_mov_b32_e32 v8, v19
	v_mov_b32_e32 v9, v2
	v_mov_b32_e32 v19, v3
	s_waitcnt vmcnt(4)
	v_pk_mul_f32 v[22:23], v[8:9], v[10:11] op_sel:[0,1]
	s_nop 0
	v_pk_add_f32 v[24:25], v[18:19], v[22:23] op_sel:[0,1] op_sel_hi:[1,0]
	v_mov_b32_e32 v19, v22
	v_mov_b32_e32 v2, v23
	v_pk_fma_f32 v[22:23], v[10:11], v[8:9], v[24:25] neg_lo:[1,0,0] neg_hi:[1,0,0]
	v_pk_fma_f32 v[24:25], v[10:11], v[8:9], v[24:25] op_sel_hi:[0,1,1]
	v_pk_add_f32 v[2:3], v[18:19], v[2:3] neg_lo:[0,1] neg_hi:[0,1]
	v_mov_b32_e32 v23, v25
	v_pk_fma_f32 v[2:3], v[10:11], v[8:9], v[2:3] op_sel_hi:[0,1,1]
	ds_write_b64 v13, v[22:23] offset:128
	ds_write_b64 v1, v[2:3] offset:768
	ds_read_b64 v[2:3], v1 offset:704
	ds_read_b64 v[8:9], v13 offset:192
	s_waitcnt lgkmcnt(0)
	v_pk_add_f32 v[10:11], v[8:9], v[2:3]
	v_pk_add_f32 v[2:3], v[8:9], v[2:3] neg_lo:[0,1] neg_hi:[0,1]
	v_mov_b32_e32 v8, v11
	v_mov_b32_e32 v9, v2
	v_mov_b32_e32 v11, v3
	s_waitcnt vmcnt(3)
	v_pk_mul_f32 v[18:19], v[8:9], v[14:15] op_sel:[0,1]
	s_nop 0
	v_pk_add_f32 v[22:23], v[10:11], v[18:19] op_sel:[0,1] op_sel_hi:[1,0]
	v_mov_b32_e32 v11, v18
	v_mov_b32_e32 v2, v19
	v_pk_fma_f32 v[18:19], v[14:15], v[8:9], v[22:23] neg_lo:[1,0,0] neg_hi:[1,0,0]
	v_pk_fma_f32 v[22:23], v[14:15], v[8:9], v[22:23] op_sel_hi:[0,1,1]
	v_pk_add_f32 v[2:3], v[10:11], v[2:3] neg_lo:[0,1] neg_hi:[0,1]
	v_mov_b32_e32 v19, v23
	v_pk_fma_f32 v[2:3], v[14:15], v[8:9], v[2:3] op_sel_hi:[0,1,1]
	ds_write_b64 v13, v[18:19] offset:192
	ds_write_b64 v1, v[2:3] offset:704
	ds_read_b64 v[2:3], v1 offset:640
	ds_read_b64 v[8:9], v13 offset:256
	;; [unrolled: 21-line block ×4, first 2 shown]
	s_waitcnt lgkmcnt(0)
	v_pk_add_f32 v[6:7], v[8:9], v[2:3]
	v_pk_add_f32 v[2:3], v[8:9], v[2:3] neg_lo:[0,1] neg_hi:[0,1]
	v_mov_b32_e32 v8, v7
	v_mov_b32_e32 v9, v2
	;; [unrolled: 1-line block ×3, first 2 shown]
	s_waitcnt vmcnt(0)
	v_pk_mul_f32 v[10:11], v[8:9], v[4:5] op_sel:[0,1]
	s_nop 0
	v_pk_add_f32 v[14:15], v[6:7], v[10:11] op_sel:[0,1] op_sel_hi:[1,0]
	v_mov_b32_e32 v7, v10
	v_mov_b32_e32 v2, v11
	v_pk_fma_f32 v[10:11], v[4:5], v[8:9], v[14:15] neg_lo:[1,0,0] neg_hi:[1,0,0]
	v_pk_fma_f32 v[14:15], v[4:5], v[8:9], v[14:15] op_sel_hi:[0,1,1]
	v_pk_add_f32 v[2:3], v[6:7], v[2:3] neg_lo:[0,1] neg_hi:[0,1]
	v_mov_b32_e32 v11, v15
	v_pk_fma_f32 v[2:3], v[4:5], v[8:9], v[2:3] op_sel_hi:[0,1,1]
	ds_write_b64 v13, v[10:11] offset:384
	ds_write_b64 v1, v[2:3] offset:512
	s_waitcnt lgkmcnt(0)
	; wave barrier
	s_waitcnt lgkmcnt(0)
	s_waitcnt lgkmcnt(0)
	; wave barrier
	s_waitcnt lgkmcnt(0)
	ds_read2_b64 v[2:5], v29 offset0:56 offset1:64
	ds_read2_b64 v[6:9], v29 offset0:8 offset1:16
	;; [unrolled: 1-line block ×5, first 2 shown]
	ds_read_b64 v[10:11], v13
	ds_read2_b64 v[32:35], v29 offset0:40 offset1:48
	ds_read_b64 v[26:27], v29 offset:832
	s_waitcnt lgkmcnt(6)
	v_pk_add_f32 v[4:5], v[6:7], v[4:5] neg_lo:[0,1] neg_hi:[0,1]
	s_waitcnt lgkmcnt(5)
	v_pk_add_f32 v[14:15], v[8:9], v[14:15] neg_lo:[0,1] neg_hi:[0,1]
	;; [unrolled: 2-line block ×3, first 2 shown]
	v_pk_add_f32 v[16:17], v[18:19], v[16:17] neg_lo:[0,1] neg_hi:[0,1]
	v_pk_add_f32 v[22:23], v[20:21], v[22:23] neg_lo:[0,1] neg_hi:[0,1]
	s_waitcnt lgkmcnt(1)
	v_pk_add_f32 v[24:25], v[32:33], v[24:25] neg_lo:[0,1] neg_hi:[0,1]
	s_waitcnt lgkmcnt(0)
	v_pk_add_f32 v[26:27], v[34:35], v[26:27] neg_lo:[0,1] neg_hi:[0,1]
	v_pk_fma_f32 v[10:11], v[10:11], 2.0, v[2:3] op_sel_hi:[1,0,1] neg_lo:[0,0,1] neg_hi:[0,0,1]
	s_waitcnt lgkmcnt(0)
	; wave barrier
	v_pk_fma_f32 v[6:7], v[6:7], 2.0, v[4:5] op_sel_hi:[1,0,1] neg_lo:[0,0,1] neg_hi:[0,0,1]
	v_pk_fma_f32 v[8:9], v[8:9], 2.0, v[14:15] op_sel_hi:[1,0,1] neg_lo:[0,0,1] neg_hi:[0,0,1]
	;; [unrolled: 1-line block ×6, first 2 shown]
	ds_write2_b64 v36, v[10:11], v[2:3] offset1:1
	ds_write2_b64 v38, v[6:7], v[4:5] offset1:1
	ds_write2_b64 v37, v[8:9], v[14:15] offset0:32 offset1:33
	ds_write2_b64 v36, v[18:19], v[16:17] offset0:48 offset1:49
	;; [unrolled: 1-line block ×5, first 2 shown]
	v_and_b32_e32 v14, 1, v0
	v_mul_u32_u24_e32 v0, 6, v14
	v_lshlrev_b32_e32 v15, 3, v0
	s_waitcnt lgkmcnt(0)
	; wave barrier
	s_waitcnt lgkmcnt(0)
	global_load_dwordx4 v[8:11], v15, s[8:9] offset:32
	global_load_dwordx4 v[4:7], v15, s[8:9]
	global_load_dwordx4 v[0:3], v15, s[8:9] offset:16
	ds_read2_b64 v[16:19], v29 offset0:8 offset1:16
	ds_read2_b64 v[20:23], v29 offset0:24 offset1:32
	;; [unrolled: 1-line block ×5, first 2 shown]
	ds_read_b64 v[42:43], v29 offset:832
	ds_read2_b32 v[44:45], v29 offset0:128 offset1:129
	ds_read_b64 v[46:47], v29 offset:448
	ds_read_b64 v[48:49], v13
	s_waitcnt lgkmcnt(6)
	v_mov_b32_e32 v51, v26
	v_mov_b32_e32 v52, v19
	;; [unrolled: 1-line block ×3, first 2 shown]
	s_waitcnt lgkmcnt(2)
	v_mov_b32_e32 v55, v44
	v_mov_b32_e32 v50, v35
	v_lshrrev_b32_e32 v15, 1, v28
	v_mul_u32_u24_e32 v15, 14, v15
	s_waitcnt lgkmcnt(0)
	; wave barrier
	s_waitcnt vmcnt(2) lgkmcnt(0)
	v_pk_mul_f32 v[56:57], v[34:35], v[8:9]
	v_pk_mul_f32 v[58:59], v[36:37], v[8:9] op_sel_hi:[1,0]
	v_mov_b32_e32 v56, v11
	v_mov_b32_e32 v60, v11
	v_pk_mul_f32 v[62:63], v[38:39], v[10:11] op_sel_hi:[1,0]
	v_pk_fma_f32 v[64:65], v[36:37], v[8:9], v[58:59] op_sel:[0,0,1] op_sel_hi:[1,1,0] neg_lo:[1,0,0] neg_hi:[1,0,0]
	v_pk_fma_f32 v[36:37], v[36:37], v[8:9], v[58:59] op_sel:[0,1,1] op_sel_hi:[1,1,0]
	v_pk_fma_f32 v[58:59], v[38:39], v[56:57], v[62:63] op_sel:[0,0,1] op_sel_hi:[1,1,0]
	v_pk_fma_f32 v[38:39], v[38:39], v[60:61], v[62:63] op_sel:[0,0,1] op_sel_hi:[1,0,0] neg_lo:[1,0,0] neg_hi:[1,0,0]
	v_pk_mul_f32 v[10:11], v[42:43], v[10:11] op_sel_hi:[1,0]
	s_waitcnt vmcnt(1)
	v_pk_mul_f32 v[62:63], v[24:25], v[6:7] op_sel_hi:[1,0]
	v_mov_b32_e32 v38, v7
	v_pk_fma_f32 v[66:67], v[42:43], v[60:61], v[10:11] op_sel:[0,0,1] op_sel_hi:[1,0,0] neg_lo:[1,0,0] neg_hi:[1,0,0]
	v_pk_fma_f32 v[10:11], v[42:43], v[60:61], v[10:11] op_sel:[0,0,1] op_sel_hi:[1,0,0]
	v_pk_fma_f32 v[42:43], v[24:25], v[38:39], v[62:63] op_sel:[0,0,1] op_sel_hi:[1,0,0] neg_lo:[1,0,0] neg_hi:[1,0,0]
	v_pk_fma_f32 v[24:25], v[24:25], v[38:39], v[62:63] op_sel:[0,0,1] op_sel_hi:[1,0,0]
	s_waitcnt vmcnt(0)
	v_mul_f32_e32 v38, v1, v26
	v_mov_b32_e32 v26, v57
	v_pk_mul_f32 v[60:61], v[4:5], v[18:19] op_sel_hi:[1,0]
	v_pk_fma_f32 v[56:57], v[34:35], v[8:9], v[26:27] neg_lo:[0,0,1] neg_hi:[0,0,1]
	v_mul_f32_e32 v26, v7, v23
	v_mov_b32_e32 v37, v65
	v_mov_b32_e32 v64, v7
	;; [unrolled: 1-line block ×4, first 2 shown]
	v_pk_fma_f32 v[52:53], v[4:5], v[52:53], v[60:61] op_sel:[0,0,1] op_sel_hi:[1,1,0]
	v_pk_fma_f32 v[18:19], v[4:5], v[18:19], v[60:61] op_sel:[0,1,1] op_sel_hi:[1,1,0] neg_lo:[1,0,0] neg_hi:[1,0,0]
	v_mov_b32_e32 v25, v43
	v_mov_b32_e32 v62, v6
	;; [unrolled: 1-line block ×3, first 2 shown]
	v_pk_mul_f32 v[60:61], v[64:65], v[22:23]
	v_mov_b32_e32 v53, v19
	v_mov_b32_e32 v59, v39
	;; [unrolled: 1-line block ×3, first 2 shown]
	v_pk_fma_f32 v[62:63], v[62:63], v[54:55], v[60:61] neg_lo:[0,0,1] neg_hi:[0,0,1]
	v_pk_fma_f32 v[54:55], v[6:7], v[54:55], v[60:61]
	v_pk_add_f32 v[60:61], v[24:25], v[36:37]
	v_pk_add_f32 v[24:25], v[24:25], v[36:37] neg_lo:[0,1] neg_hi:[0,1]
	v_pk_add_f32 v[36:37], v[52:53], v[58:59]
	v_pk_add_f32 v[52:53], v[52:53], v[58:59] neg_lo:[0,1] neg_hi:[0,1]
	v_mov_b32_e32 v58, v9
	v_mov_b32_e32 v59, v1
	v_mov_b32_e32 v42, v8
	v_mov_b32_e32 v43, v0
	v_fma_f32 v26, v6, v22, -v26
	v_pk_mul_f32 v[6:7], v[58:59], v[34:35]
	v_mov_b32_e32 v55, v63
	v_pk_fma_f32 v[8:9], v[8:9], v[50:51], v[6:7]
	v_pk_fma_f32 v[6:7], v[42:43], v[50:51], v[6:7] neg_lo:[0,0,1] neg_hi:[0,0,1]
	v_mul_f32_e32 v27, v0, v27
	v_mov_b32_e32 v9, v7
	v_mov_b32_e32 v18, v19
	v_mul_f32_e32 v19, v45, v2
	v_mov_b32_e32 v57, v38
	v_pk_add_f32 v[22:23], v[54:55], v[8:9]
	v_pk_add_f32 v[42:43], v[54:55], v[8:9] neg_lo:[0,1] neg_hi:[0,1]
	v_mul_f32_e32 v9, v3, v44
	v_mov_b32_e32 v8, v39
	v_pk_add_f32 v[18:19], v[18:19], v[8:9]
	v_pk_add_f32 v[38:39], v[26:27], v[56:57]
	v_mov_b32_e32 v8, v19
	v_mov_b32_e32 v9, v26
	;; [unrolled: 1-line block ×4, first 2 shown]
	v_or_b32_e32 v6, v15, v14
	v_pk_add_f32 v[26:27], v[8:9], v[26:27] neg_lo:[0,1] neg_hi:[0,1]
	v_pk_mul_f32 v[8:9], v[20:21], v[4:5] op_sel_hi:[1,0]
	v_lshlrev_b32_e32 v6, 3, v6
	v_pk_fma_f32 v[34:35], v[20:21], v[4:5], v[8:9] op_sel:[0,0,1] op_sel_hi:[1,1,0] neg_lo:[1,0,0] neg_hi:[1,0,0]
	v_pk_fma_f32 v[4:5], v[20:21], v[4:5], v[8:9] op_sel:[0,1,1] op_sel_hi:[1,1,0]
	v_mov_b32_e32 v11, v67
	v_add3_u32 v15, 0, v6, v12
	v_mov_b32_e32 v5, v35
	v_mov_b32_e32 v6, v3
	v_pk_add_f32 v[34:35], v[4:5], v[10:11]
	v_pk_add_f32 v[4:5], v[4:5], v[10:11] neg_lo:[0,1] neg_hi:[0,1]
	v_pk_mul_f32 v[10:11], v[32:33], v[6:7] op_sel_hi:[1,0]
	v_mov_b32_e32 v55, v60
	v_pk_fma_f32 v[50:51], v[32:33], v[2:3], v[10:11] op_sel:[0,0,1] op_sel_hi:[1,1,0] neg_lo:[0,0,1] neg_hi:[0,0,1]
	v_pk_fma_f32 v[2:3], v[32:33], v[2:3], v[10:11] op_sel:[0,0,1] op_sel_hi:[1,0,0]
	v_pk_mul_f32 v[10:11], v[46:47], v[0:1] op_sel:[0,1]
	v_mov_b32_e32 v51, v3
	v_pk_fma_f32 v[32:33], v[46:47], v[0:1], v[10:11] op_sel:[0,0,1] op_sel_hi:[1,1,0] neg_lo:[0,0,1] neg_hi:[0,0,1]
	v_pk_fma_f32 v[0:1], v[46:47], v[0:1], v[10:11] op_sel:[0,0,1] op_sel_hi:[1,0,0]
	v_pk_add_f32 v[10:11], v[60:61], v[34:35] op_sel:[1,1] op_sel_hi:[0,0] neg_lo:[0,1] neg_hi:[0,1]
	v_mov_b32_e32 v33, v1
	v_pk_add_f32 v[0:1], v[32:33], v[50:51]
	v_pk_add_f32 v[2:3], v[50:51], v[32:33] neg_lo:[0,1] neg_hi:[0,1]
	v_mov_b32_e32 v50, v35
	v_mov_b32_e32 v51, v1
	;; [unrolled: 1-line block ×3, first 2 shown]
	v_pk_add_f32 v[32:33], v[60:61], v[34:35] op_sel:[1,1] op_sel_hi:[0,0]
	v_pk_add_f32 v[50:51], v[50:51], v[54:55] neg_lo:[0,1] neg_hi:[0,1]
	v_mov_b32_e32 v55, v34
	v_mov_b32_e32 v34, v61
	;; [unrolled: 1-line block ×3, first 2 shown]
	v_pk_add_f32 v[34:35], v[54:55], v[34:35] neg_lo:[0,1] neg_hi:[0,1]
	v_mov_b32_e32 v54, v3
	v_mov_b32_e32 v55, v5
	v_mov_b32_e32 v56, v24
	v_mov_b32_e32 v57, v2
	v_pk_add_f32 v[46:47], v[24:25], v[4:5] neg_lo:[0,1] neg_hi:[0,1]
	v_pk_add_f32 v[54:55], v[54:55], v[56:57] neg_lo:[0,1] neg_hi:[0,1]
	v_pk_add_f32 v[56:57], v[2:3], v[24:25] op_sel:[1,0] op_sel_hi:[0,1]
	v_mov_b32_e32 v24, v3
	v_mov_b32_e32 v3, v2
	;; [unrolled: 1-line block ×3, first 2 shown]
	v_pk_add_f32 v[2:3], v[2:3], v[24:25] neg_lo:[0,1] neg_hi:[0,1]
	v_pk_add_f32 v[0:1], v[0:1], v[32:33]
	v_pk_mul_f32 v[32:33], v[34:35], s[18:19]
	v_pk_mul_f32 v[34:35], v[50:51], s[14:15]
	v_mov_b32_e32 v44, v26
	v_mov_b32_e32 v45, v53
	v_pk_add_f32 v[4:5], v[56:57], v[4:5]
	v_pk_mul_f32 v[56:57], v[2:3], s[4:5]
	v_pk_mul_f32 v[54:55], v[54:55], s[16:17]
	v_mov_b32_e32 v58, v32
	v_mov_b32_e32 v59, v35
	v_pk_add_f32 v[44:45], v[44:45], v[42:43] neg_lo:[0,1] neg_hi:[0,1]
	v_pk_mul_f32 v[24:25], v[10:11], s[10:11] op_sel_hi:[1,0]
	v_pk_fma_f32 v[10:11], v[10:11], s[10:11], v[58:59] op_sel_hi:[1,0,1] neg_lo:[0,0,1] neg_hi:[0,0,1]
	v_mov_b32_e32 v58, v54
	v_mov_b32_e32 v59, v57
	v_pk_mul_f32 v[44:45], v[44:45], s[16:17]
	v_pk_add_f32 v[16:17], v[0:1], v[16:17]
	v_pk_fma_f32 v[58:59], v[46:47], s[12:13], v[58:59] op_sel_hi:[1,0,1] neg_lo:[0,0,1] neg_hi:[0,0,1]
	v_pk_mul_f32 v[46:47], v[46:47], s[12:13] op_sel_hi:[1,0]
	s_mov_b32 s16, 0x3f955555
	v_pk_fma_f32 v[2:3], v[2:3], s[4:5], v[54:55]
	v_pk_fma_f32 v[58:59], v[4:5], s[2:3], v[58:59] op_sel_hi:[1,0,1]
	v_pk_fma_f32 v[2:3], v[4:5], s[2:3], v[2:3] op_sel_hi:[1,0,1]
	v_pk_mul_f32 v[4:5], v[4:5], s[2:3] op_sel_hi:[1,0]
	v_pk_fma_f32 v[0:1], v[0:1], s[16:17], v[16:17] op_sel_hi:[1,0,1] neg_lo:[1,0,0] neg_hi:[1,0,0]
	v_pk_fma_f32 v[50:51], v[50:51], s[14:15], v[32:33]
	v_mov_b32_e32 v32, v33
	v_mov_b32_e32 v33, v47
	;; [unrolled: 1-line block ×3, first 2 shown]
	v_pk_add_f32 v[32:33], v[32:33], v[54:55] neg_lo:[1,1] neg_hi:[1,1]
	v_mov_b32_e32 v54, v1
	v_mov_b32_e32 v55, v5
	v_pk_add_f32 v[54:55], v[32:33], v[54:55]
	v_pk_add_f32 v[32:33], v[42:43], v[26:27]
	v_mov_b32_e32 v47, v34
	v_mov_b32_e32 v57, v24
	v_pk_add_f32 v[60:61], v[32:33], v[52:53]
	v_pk_add_f32 v[32:33], v[50:51], v[0:1]
	v_pk_add_f32 v[24:25], v[46:47], v[56:57] neg_lo:[1,1] neg_hi:[1,1]
	v_mov_b32_e32 v5, v0
	v_pk_add_f32 v[10:11], v[10:11], v[0:1]
	v_pk_add_f32 v[24:25], v[4:5], v[24:25]
	;; [unrolled: 1-line block ×3, first 2 shown]
	v_pk_add_f32 v[4:5], v[32:33], v[2:3] neg_lo:[0,1] neg_hi:[0,1]
	v_mov_b32_e32 v6, v7
	v_mov_b32_e32 v7, v22
	;; [unrolled: 1-line block ×5, first 2 shown]
	v_pk_add_f32 v[4:5], v[38:39], v[18:19]
	v_pk_add_f32 v[6:7], v[6:7], v[34:35]
	v_mov_b32_e32 v39, v5
	v_mov_b32_e32 v34, v6
	;; [unrolled: 1-line block ×4, first 2 shown]
	v_pk_add_f32 v[34:35], v[34:35], v[38:39] neg_lo:[0,1] neg_hi:[0,1]
	v_mov_b32_e32 v19, v5
	v_mov_b32_e32 v46, v6
	;; [unrolled: 1-line block ×3, first 2 shown]
	v_pk_add_f32 v[4:5], v[4:5], v[6:7]
	v_pk_add_f32 v[8:9], v[8:9], v[26:27] neg_lo:[0,1] neg_hi:[0,1]
	v_pk_add_f32 v[46:47], v[18:19], v[46:47] neg_lo:[0,1] neg_hi:[0,1]
	v_pk_add_f32 v[6:7], v[4:5], v[48:49]
	v_pk_mul_f32 v[48:49], v[34:35], s[18:19]
	v_pk_mul_f32 v[20:21], v[8:9], s[4:5]
	v_pk_fma_f32 v[50:51], v[4:5], s[16:17], v[6:7] op_sel_hi:[1,0,1] neg_lo:[1,0,0] neg_hi:[1,0,0]
	v_pk_fma_f32 v[4:5], v[46:47], s[14:15], v[48:49]
	v_pk_fma_f32 v[8:9], v[8:9], s[4:5], v[44:45]
	v_pk_add_f32 v[4:5], v[4:5], v[50:51]
	v_pk_fma_f32 v[8:9], v[60:61], s[2:3], v[8:9] op_sel_hi:[1,0,1]
	v_mov_b32_e32 v43, v27
	v_pk_add_f32 v[56:57], v[4:5], v[8:9]
	v_pk_add_f32 v[62:63], v[4:5], v[8:9] neg_lo:[0,1] neg_hi:[0,1]
	v_mov_b32_e32 v4, v56
	v_mov_b32_e32 v5, v63
	ds_write2_b64 v15, v[6:7], v[4:5] offset1:2
	v_mov_b32_e32 v5, v32
	v_mov_b32_e32 v7, v2
	;; [unrolled: 1-line block ×4, first 2 shown]
	v_pk_add_f32 v[34:35], v[2:3], v[32:33]
	v_mov_b32_e32 v4, v25
	v_mov_b32_e32 v6, v24
	v_pk_mul_f32 v[2:3], v[46:47], s[14:15]
	v_mov_b32_e32 v39, v22
	v_mov_b32_e32 v19, v36
	v_pk_add_f32 v[32:33], v[58:59], v[10:11]
	v_pk_add_f32 v[8:9], v[10:11], v[58:59] neg_lo:[0,1] neg_hi:[0,1]
	v_pk_add_f32 v[4:5], v[4:5], v[6:7] neg_lo:[0,1] neg_hi:[0,1]
	;; [unrolled: 1-line block ×4, first 2 shown]
	v_mov_b32_e32 v18, v2
	v_mov_b32_e32 v19, v49
	;; [unrolled: 1-line block ×6, first 2 shown]
	v_pk_fma_f32 v[18:19], v[10:11], s[10:11], v[18:19] op_sel_hi:[1,0,1] neg_lo:[1,0,1] neg_hi:[1,0,1]
	v_pk_fma_f32 v[22:23], v[6:7], s[12:13], v[22:23] op_sel_hi:[1,0,1] neg_lo:[1,0,1] neg_hi:[1,0,1]
	v_pk_fma_f32 v[2:3], v[10:11], s[10:11], v[48:49] op_sel_hi:[1,0,1] neg_lo:[0,0,1] neg_hi:[0,0,1]
	v_pk_fma_f32 v[6:7], v[6:7], s[12:13], v[44:45] op_sel_hi:[1,0,1] neg_lo:[0,0,1] neg_hi:[0,0,1]
	v_pk_add_f32 v[18:19], v[18:19], v[50:51]
	v_pk_fma_f32 v[22:23], v[60:61], s[2:3], v[22:23] op_sel_hi:[1,0,1]
	v_pk_add_f32 v[2:3], v[2:3], v[50:51]
	v_pk_fma_f32 v[6:7], v[60:61], s[2:3], v[6:7] op_sel_hi:[1,0,1]
	v_pk_add_f32 v[26:27], v[18:19], v[22:23]
	v_pk_add_f32 v[18:19], v[18:19], v[22:23] neg_lo:[0,1] neg_hi:[0,1]
	v_pk_add_f32 v[10:11], v[2:3], v[6:7] neg_lo:[0,1] neg_hi:[0,1]
	v_pk_add_f32 v[2:3], v[2:3], v[6:7]
	v_mov_b32_e32 v23, v19
	v_mov_b32_e32 v7, v3
	;; [unrolled: 1-line block ×4, first 2 shown]
	ds_write2_b64 v15, v[2:3], v[18:19] offset0:8 offset1:10
	v_lshrrev_b32_e32 v2, 1, v40
	v_mul_u32_u24_e32 v2, 14, v2
	v_or_b32_e32 v2, v2, v14
	v_lshlrev_b32_e32 v2, 3, v2
	v_mov_b32_e32 v22, v26
	v_mov_b32_e32 v6, v10
	v_add3_u32 v12, 0, v2, v12
	v_mov_b32_e32 v2, v24
	v_mov_b32_e32 v3, v54
	;; [unrolled: 1-line block ×3, first 2 shown]
	ds_write2_b64 v15, v[22:23], v[6:7] offset0:4 offset1:6
	v_pk_add_f32 v[6:7], v[2:3], v[54:55]
	v_pk_add_f32 v[2:3], v[2:3], v[54:55] neg_lo:[0,1] neg_hi:[0,1]
	v_mov_b32_e32 v63, v57
	v_mov_b32_e32 v7, v3
	;; [unrolled: 1-line block ×4, first 2 shown]
	ds_write_b64 v15, v[62:63] offset:96
	ds_write2_b64 v12, v[6:7], v[10:11] offset0:4 offset1:6
	v_mov_b32_e32 v10, v32
	v_mov_b32_e32 v11, v9
	;; [unrolled: 1-line block ×4, first 2 shown]
	ds_write2_b64 v12, v[10:11], v[14:15] offset0:8 offset1:10
	v_mov_b32_e32 v10, v5
	v_mov_b32_e32 v11, v35
	ds_write2_b64 v12, v[16:17], v[0:1] offset1:2
	ds_write_b64 v12, v[10:11] offset:96
	s_waitcnt lgkmcnt(0)
	; wave barrier
	s_waitcnt lgkmcnt(0)
	ds_read2_b64 v[24:27], v29 offset0:14 offset1:28
	ds_read2_b64 v[20:23], v29 offset0:42 offset1:56
	;; [unrolled: 1-line block ×3, first 2 shown]
	ds_read_b64 v[36:37], v13
	ds_read_b64 v[38:39], v29 offset:784
	v_cmp_gt_u32_e64 s[2:3], 6, v28
	v_cmp_lt_u32_e64 s[4:5], 5, v28
	s_and_saveexec_b64 s[10:11], s[4:5]
	s_xor_b64 s[4:5], exec, s[10:11]
	s_or_saveexec_b64 s[4:5], s[4:5]
                                        ; implicit-def: $vgpr12
	s_xor_b64 exec, exec, s[4:5]
	s_cbranch_execz .LBB0_12
; %bb.11:
	ds_read2_b64 v[8:11], v29 offset0:36 offset1:50
	ds_read2_b64 v[4:7], v29 offset0:64 offset1:78
	;; [unrolled: 1-line block ×4, first 2 shown]
	s_waitcnt lgkmcnt(3)
	v_mov_b32_e32 v32, v10
	v_mov_b32_e32 v33, v9
	s_waitcnt lgkmcnt(2)
	v_mov_b32_e32 v34, v5
	v_mov_b32_e32 v35, v7
	;; [unrolled: 1-line block ×4, first 2 shown]
	s_waitcnt lgkmcnt(1)
	v_mov_b32_e32 v6, v2
.LBB0_12:
	s_or_b64 exec, exec, s[4:5]
	v_mul_u32_u24_e32 v2, 7, v28
	v_lshlrev_b32_e32 v2, 3, v2
	global_load_dwordx4 v[42:45], v2, s[8:9] offset:96
	global_load_dwordx4 v[46:49], v2, s[8:9] offset:112
	;; [unrolled: 1-line block ×3, first 2 shown]
	global_load_dwordx2 v[10:11], v2, s[8:9] offset:144
	s_mov_b32 s10, 0x3f3504f3
	v_cmp_gt_u32_e64 s[4:5], 14, v40
	s_waitcnt lgkmcnt(0)
	; wave barrier
	s_waitcnt vmcnt(3) lgkmcnt(0)
	v_pk_mul_f32 v[54:55], v[42:43], v[24:25] op_sel:[0,1]
	v_pk_mul_f32 v[56:57], v[44:45], v[26:27] op_sel:[0,1]
	s_waitcnt vmcnt(2)
	v_pk_mul_f32 v[58:59], v[46:47], v[20:21] op_sel:[0,1]
	v_pk_mul_f32 v[60:61], v[48:49], v[22:23] op_sel:[0,1]
	s_waitcnt vmcnt(1)
	;; [unrolled: 3-line block ×3, first 2 shown]
	v_pk_mul_f32 v[66:67], v[10:11], v[38:39] op_sel:[0,1]
	v_pk_fma_f32 v[68:69], v[42:43], v[24:25], v[54:55] op_sel:[0,0,1] op_sel_hi:[1,1,0] neg_lo:[0,0,1] neg_hi:[0,0,1]
	v_pk_fma_f32 v[24:25], v[42:43], v[24:25], v[54:55] op_sel:[0,0,1] op_sel_hi:[1,0,0]
	v_pk_fma_f32 v[42:43], v[44:45], v[26:27], v[56:57] op_sel:[0,0,1] op_sel_hi:[1,1,0] neg_lo:[0,0,1] neg_hi:[0,0,1]
	v_pk_fma_f32 v[26:27], v[44:45], v[26:27], v[56:57] op_sel:[0,0,1] op_sel_hi:[1,0,0]
	v_pk_fma_f32 v[44:45], v[46:47], v[20:21], v[58:59] op_sel:[0,0,1] op_sel_hi:[1,1,0] neg_lo:[0,0,1] neg_hi:[0,0,1]
	v_pk_fma_f32 v[20:21], v[46:47], v[20:21], v[58:59] op_sel:[0,0,1] op_sel_hi:[1,0,0]
	v_pk_fma_f32 v[46:47], v[48:49], v[22:23], v[60:61] op_sel:[0,0,1] op_sel_hi:[1,1,0] neg_lo:[0,0,1] neg_hi:[0,0,1]
	v_pk_fma_f32 v[22:23], v[48:49], v[22:23], v[60:61] op_sel:[0,0,1] op_sel_hi:[1,0,0]
	v_pk_fma_f32 v[48:49], v[50:51], v[16:17], v[62:63] op_sel:[0,0,1] op_sel_hi:[1,1,0] neg_lo:[0,0,1] neg_hi:[0,0,1]
	v_pk_fma_f32 v[16:17], v[50:51], v[16:17], v[62:63] op_sel:[0,0,1] op_sel_hi:[1,0,0]
	v_pk_fma_f32 v[50:51], v[52:53], v[18:19], v[64:65] op_sel:[0,0,1] op_sel_hi:[1,1,0] neg_lo:[0,0,1] neg_hi:[0,0,1]
	v_pk_fma_f32 v[18:19], v[52:53], v[18:19], v[64:65] op_sel:[0,0,1] op_sel_hi:[1,0,0]
	v_pk_fma_f32 v[52:53], v[10:11], v[38:39], v[66:67] op_sel:[0,0,1] op_sel_hi:[1,1,0] neg_lo:[0,0,1] neg_hi:[0,0,1]
	v_pk_fma_f32 v[10:11], v[10:11], v[38:39], v[66:67] op_sel:[0,0,1] op_sel_hi:[1,0,0]
	v_mov_b32_e32 v69, v25
	v_mov_b32_e32 v43, v27
	;; [unrolled: 1-line block ×7, first 2 shown]
	v_pk_add_f32 v[10:11], v[36:37], v[46:47] neg_lo:[0,1] neg_hi:[0,1]
	v_pk_add_f32 v[16:17], v[42:43], v[50:51] neg_lo:[0,1] neg_hi:[0,1]
	;; [unrolled: 1-line block ×4, first 2 shown]
	v_pk_fma_f32 v[22:23], v[36:37], 2.0, v[10:11] op_sel_hi:[1,0,1] neg_lo:[0,0,1] neg_hi:[0,0,1]
	v_pk_fma_f32 v[24:25], v[42:43], 2.0, v[16:17] op_sel_hi:[1,0,1] neg_lo:[0,0,1] neg_hi:[0,0,1]
	v_pk_fma_f32 v[26:27], v[68:69], 2.0, v[18:19] op_sel_hi:[1,0,1] neg_lo:[0,0,1] neg_hi:[0,0,1]
	v_pk_fma_f32 v[36:37], v[44:45], 2.0, v[20:21] op_sel_hi:[1,0,1] neg_lo:[0,0,1] neg_hi:[0,0,1]
	v_pk_add_f32 v[38:39], v[10:11], v[16:17] op_sel:[0,1] op_sel_hi:[1,0] neg_lo:[0,1] neg_hi:[0,1]
	v_pk_add_f32 v[16:17], v[10:11], v[16:17] op_sel:[0,1] op_sel_hi:[1,0]
	v_pk_add_f32 v[42:43], v[18:19], v[20:21] op_sel:[0,1] op_sel_hi:[1,0] neg_lo:[0,1] neg_hi:[0,1]
	v_pk_add_f32 v[20:21], v[18:19], v[20:21] op_sel:[0,1] op_sel_hi:[1,0]
	v_pk_add_f32 v[24:25], v[22:23], v[24:25] neg_lo:[0,1] neg_hi:[0,1]
	v_pk_add_f32 v[36:37], v[26:27], v[36:37] neg_lo:[0,1] neg_hi:[0,1]
	v_mov_b32_e32 v39, v17
	v_mov_b32_e32 v43, v21
	v_pk_fma_f32 v[16:17], v[22:23], 2.0, v[24:25] op_sel_hi:[1,0,1] neg_lo:[0,0,1] neg_hi:[0,0,1]
	v_pk_fma_f32 v[20:21], v[26:27], 2.0, v[36:37] op_sel_hi:[1,0,1] neg_lo:[0,0,1] neg_hi:[0,0,1]
	;; [unrolled: 1-line block ×4, first 2 shown]
	v_pk_add_f32 v[22:23], v[24:25], v[36:37] op_sel:[0,1] op_sel_hi:[1,0] neg_lo:[0,1] neg_hi:[0,1]
	v_pk_add_f32 v[26:27], v[24:25], v[36:37] op_sel:[0,1] op_sel_hi:[1,0]
	v_pk_mul_f32 v[36:37], v[42:43], s[10:11] op_sel_hi:[1,0]
	v_pk_fma_f32 v[42:43], v[42:43], s[10:11], v[38:39] op_sel_hi:[1,0,1]
	v_pk_mul_f32 v[44:45], v[18:19], s[10:11] op_sel_hi:[1,0]
	v_pk_fma_f32 v[18:19], v[18:19], s[10:11], v[10:11] op_sel_hi:[1,0,1] neg_lo:[1,0,0] neg_hi:[1,0,0]
	v_mov_b32_e32 v23, v27
	v_pk_add_f32 v[26:27], v[42:43], v[36:37] op_sel:[0,1] op_sel_hi:[1,0] neg_lo:[0,1] neg_hi:[0,1]
	v_pk_add_f32 v[36:37], v[42:43], v[36:37] op_sel:[0,1] op_sel_hi:[1,0]
	v_pk_add_f32 v[42:43], v[18:19], v[44:45] op_sel:[0,1] op_sel_hi:[1,0] neg_lo:[0,1] neg_hi:[0,1]
	v_pk_add_f32 v[18:19], v[18:19], v[44:45] op_sel:[0,1] op_sel_hi:[1,0]
	v_mov_b32_e32 v27, v37
	v_pk_add_f32 v[20:21], v[16:17], v[20:21] neg_lo:[0,1] neg_hi:[0,1]
	v_pk_fma_f32 v[24:25], v[24:25], 2.0, v[22:23] op_sel_hi:[1,0,1] neg_lo:[0,0,1] neg_hi:[0,0,1]
	v_mov_b32_e32 v43, v19
	v_pk_fma_f32 v[18:19], v[38:39], 2.0, v[26:27] op_sel_hi:[1,0,1] neg_lo:[0,0,1] neg_hi:[0,0,1]
	v_pk_fma_f32 v[16:17], v[16:17], 2.0, v[20:21] op_sel_hi:[1,0,1] neg_lo:[0,0,1] neg_hi:[0,0,1]
	;; [unrolled: 1-line block ×3, first 2 shown]
	ds_write2_b64 v29, v[24:25], v[18:19] offset0:28 offset1:42
	ds_write2_b64 v29, v[20:21], v[42:43] offset0:56 offset1:70
	ds_write2_b64 v29, v[16:17], v[10:11] offset1:14
	ds_write2_b64 v29, v[22:23], v[26:27] offset0:84 offset1:98
	s_and_saveexec_b64 s[12:13], s[2:3]
	s_cbranch_execz .LBB0_14
; %bb.13:
	v_add_u32_e32 v2, -6, v28
	v_cndmask_b32_e64 v2, v2, v40, s[4:5]
	v_mul_i32_i24_e32 v10, 7, v2
	v_mov_b32_e32 v11, 0
	v_lshl_add_u64 v[10:11], v[10:11], 3, s[8:9]
	global_load_dwordx4 v[16:19], v[10:11], off offset:96
	global_load_dwordx4 v[20:23], v[10:11], off offset:128
	;; [unrolled: 1-line block ×3, first 2 shown]
	global_load_dwordx2 v[36:37], v[10:11], off offset:144
	v_mov_b32_e32 v2, v13
	v_mov_b32_e32 v10, v3
	;; [unrolled: 1-line block ×3, first 2 shown]
	s_waitcnt vmcnt(3)
	v_pk_mul_f32 v[40:41], v[32:33], v[18:19] op_sel:[1,0]
	s_waitcnt vmcnt(2)
	v_pk_mul_f32 v[2:3], v[2:3], v[22:23] op_sel_hi:[0,1]
	s_waitcnt vmcnt(1)
	v_pk_mul_f32 v[42:43], v[34:35], v[26:27] op_sel_hi:[0,1]
	v_pk_mul_f32 v[10:11], v[10:11], v[16:17] op_sel_hi:[0,1]
	v_pk_mul_f32 v[34:35], v[34:35], v[20:21] op_sel:[1,0]
	v_pk_mul_f32 v[44:45], v[8:9], v[24:25] op_sel:[1,0]
	s_waitcnt vmcnt(0)
	v_pk_mul_f32 v[38:39], v[38:39], v[36:37] op_sel_hi:[0,1]
	v_pk_fma_f32 v[46:47], v[4:5], v[26:27], v[42:43] op_sel:[0,0,1] op_sel_hi:[1,1,0] neg_lo:[0,0,1] neg_hi:[0,0,1]
	v_pk_fma_f32 v[26:27], v[4:5], v[26:27], v[42:43] op_sel:[0,0,1] op_sel_hi:[0,1,0]
	v_pk_fma_f32 v[42:43], v[8:9], v[18:19], v[40:41] op_sel:[0,0,1] op_sel_hi:[1,1,0] neg_lo:[0,0,1] neg_hi:[0,0,1]
	v_pk_fma_f32 v[8:9], v[8:9], v[18:19], v[40:41] op_sel:[0,0,1] op_sel_hi:[0,1,0]
	;; [unrolled: 2-line block ×7, first 2 shown]
	v_mov_b32_e32 v47, v27
	v_mov_b32_e32 v43, v9
	;; [unrolled: 1-line block ×7, first 2 shown]
	v_pk_add_f32 v[2:3], v[0:1], v[46:47] neg_lo:[0,1] neg_hi:[0,1]
	v_pk_add_f32 v[4:5], v[42:43], v[18:19] neg_lo:[0,1] neg_hi:[0,1]
	;; [unrolled: 1-line block ×4, first 2 shown]
	v_pk_fma_f32 v[0:1], v[0:1], 2.0, v[2:3] op_sel_hi:[1,0,1] neg_lo:[0,0,1] neg_hi:[0,0,1]
	v_pk_fma_f32 v[10:11], v[42:43], 2.0, v[4:5] op_sel_hi:[1,0,1] neg_lo:[0,0,1] neg_hi:[0,0,1]
	;; [unrolled: 1-line block ×4, first 2 shown]
	v_pk_add_f32 v[16:17], v[2:3], v[4:5] op_sel:[0,1] op_sel_hi:[1,0] neg_lo:[0,1] neg_hi:[0,1]
	v_pk_add_f32 v[4:5], v[2:3], v[4:5] op_sel:[0,1] op_sel_hi:[1,0]
	v_pk_add_f32 v[18:19], v[8:9], v[6:7] op_sel:[0,1] op_sel_hi:[1,0] neg_lo:[0,1] neg_hi:[0,1]
	v_pk_add_f32 v[6:7], v[8:9], v[6:7] op_sel:[0,1] op_sel_hi:[1,0]
	v_pk_add_f32 v[10:11], v[0:1], v[10:11] neg_lo:[0,1] neg_hi:[0,1]
	v_pk_add_f32 v[12:13], v[14:15], v[12:13] neg_lo:[0,1] neg_hi:[0,1]
	v_mov_b32_e32 v17, v5
	v_mov_b32_e32 v19, v7
	v_pk_fma_f32 v[4:5], v[14:15], 2.0, v[12:13] op_sel_hi:[1,0,1] neg_lo:[0,0,1] neg_hi:[0,0,1]
	v_pk_fma_f32 v[6:7], v[8:9], 2.0, v[18:19] op_sel_hi:[1,0,1] neg_lo:[0,0,1] neg_hi:[0,0,1]
	v_pk_fma_f32 v[2:3], v[2:3], 2.0, v[16:17] op_sel_hi:[1,0,1] neg_lo:[0,0,1] neg_hi:[0,0,1]
	v_pk_add_f32 v[8:9], v[10:11], v[12:13] op_sel:[0,1] op_sel_hi:[1,0] neg_lo:[0,1] neg_hi:[0,1]
	v_pk_add_f32 v[12:13], v[10:11], v[12:13] op_sel:[0,1] op_sel_hi:[1,0]
	v_pk_mul_f32 v[14:15], v[18:19], s[10:11] op_sel_hi:[1,0]
	v_pk_fma_f32 v[18:19], v[18:19], s[10:11], v[16:17] op_sel_hi:[1,0,1]
	v_pk_mul_f32 v[20:21], v[6:7], s[10:11] op_sel_hi:[1,0]
	v_pk_fma_f32 v[6:7], v[6:7], s[10:11], v[2:3] op_sel_hi:[1,0,1] neg_lo:[1,0,0] neg_hi:[1,0,0]
	v_mov_b32_e32 v9, v13
	v_pk_add_f32 v[12:13], v[18:19], v[14:15] op_sel:[0,1] op_sel_hi:[1,0] neg_lo:[0,1] neg_hi:[0,1]
	v_pk_add_f32 v[14:15], v[18:19], v[14:15] op_sel:[0,1] op_sel_hi:[1,0]
	v_pk_fma_f32 v[0:1], v[0:1], 2.0, v[10:11] op_sel_hi:[1,0,1] neg_lo:[0,0,1] neg_hi:[0,0,1]
	v_pk_add_f32 v[18:19], v[6:7], v[20:21] op_sel:[0,1] op_sel_hi:[1,0] neg_lo:[0,1] neg_hi:[0,1]
	v_pk_add_f32 v[6:7], v[6:7], v[20:21] op_sel:[0,1] op_sel_hi:[1,0]
	v_mov_b32_e32 v13, v15
	v_pk_add_f32 v[4:5], v[0:1], v[4:5] neg_lo:[0,1] neg_hi:[0,1]
	v_pk_fma_f32 v[10:11], v[10:11], 2.0, v[8:9] op_sel_hi:[1,0,1] neg_lo:[0,0,1] neg_hi:[0,0,1]
	v_mov_b32_e32 v19, v7
	v_pk_fma_f32 v[6:7], v[16:17], 2.0, v[12:13] op_sel_hi:[1,0,1] neg_lo:[0,0,1] neg_hi:[0,0,1]
	v_pk_fma_f32 v[0:1], v[0:1], 2.0, v[4:5] op_sel_hi:[1,0,1] neg_lo:[0,0,1] neg_hi:[0,0,1]
	;; [unrolled: 1-line block ×3, first 2 shown]
	ds_write2_b64 v29, v[10:11], v[6:7] offset0:36 offset1:50
	ds_write2_b64 v29, v[4:5], v[18:19] offset0:64 offset1:78
	;; [unrolled: 1-line block ×4, first 2 shown]
.LBB0_14:
	s_or_b64 exec, exec, s[12:13]
	s_waitcnt lgkmcnt(0)
	; wave barrier
	s_waitcnt lgkmcnt(0)
	s_and_saveexec_b64 s[2:3], vcc
	s_cbranch_execz .LBB0_16
; %bb.15:
	s_load_dwordx2 s[0:1], s[0:1], 0x58
	v_mad_u64_u32 v[4:5], s[2:3], s6, v30, 0
	v_mov_b32_e32 v0, v5
	v_lshl_add_u32 v10, v28, 3, v31
	v_mad_u64_u32 v[6:7], s[2:3], s7, v30, v[0:1]
	ds_read2_b64 v[0:3], v10 offset1:8
	v_mov_b32_e32 v5, v6
	v_mov_b32_e32 v29, 0
	s_waitcnt lgkmcnt(0)
	v_lshl_add_u64 v[8:9], v[4:5], 3, s[0:1]
	v_lshl_add_u64 v[4:5], v[28:29], 3, v[8:9]
	global_store_dwordx2 v[4:5], v[0:1], off
	ds_read2_b64 v[4:7], v10 offset0:16 offset1:24
	v_add_u32_e32 v0, 8, v28
	v_mov_b32_e32 v1, v29
	v_lshl_add_u64 v[0:1], v[0:1], 3, v[8:9]
	global_store_dwordx2 v[0:1], v[2:3], off
	v_add_u32_e32 v0, 16, v28
	v_mov_b32_e32 v1, v29
	v_lshl_add_u64 v[0:1], v[0:1], 3, v[8:9]
	s_waitcnt lgkmcnt(0)
	global_store_dwordx2 v[0:1], v[4:5], off
	v_add_u32_e32 v0, 24, v28
	v_mov_b32_e32 v1, v29
	v_lshl_add_u64 v[4:5], v[0:1], 3, v[8:9]
	ds_read2_b64 v[0:3], v10 offset0:32 offset1:40
	global_store_dwordx2 v[4:5], v[6:7], off
	v_add_u32_e32 v4, 32, v28
	v_mov_b32_e32 v5, v29
	v_lshl_add_u64 v[4:5], v[4:5], 3, v[8:9]
	s_waitcnt lgkmcnt(0)
	global_store_dwordx2 v[4:5], v[0:1], off
	ds_read2_b64 v[4:7], v10 offset0:48 offset1:56
	v_add_u32_e32 v0, 40, v28
	v_mov_b32_e32 v1, v29
	v_lshl_add_u64 v[0:1], v[0:1], 3, v[8:9]
	global_store_dwordx2 v[0:1], v[2:3], off
	v_add_u32_e32 v0, 48, v28
	v_mov_b32_e32 v1, v29
	v_lshl_add_u64 v[0:1], v[0:1], 3, v[8:9]
	s_waitcnt lgkmcnt(0)
	global_store_dwordx2 v[0:1], v[4:5], off
	v_add_u32_e32 v0, 56, v28
	v_mov_b32_e32 v1, v29
	v_lshl_add_u64 v[4:5], v[0:1], 3, v[8:9]
	ds_read2_b64 v[0:3], v10 offset0:64 offset1:72
	global_store_dwordx2 v[4:5], v[6:7], off
	v_add_u32_e32 v4, 64, v28
	v_mov_b32_e32 v5, v29
	v_lshl_add_u64 v[4:5], v[4:5], 3, v[8:9]
	s_waitcnt lgkmcnt(0)
	global_store_dwordx2 v[4:5], v[0:1], off
	ds_read2_b64 v[4:7], v10 offset0:80 offset1:88
	v_add_u32_e32 v0, 0x48, v28
	v_mov_b32_e32 v1, v29
	v_lshl_add_u64 v[0:1], v[0:1], 3, v[8:9]
	global_store_dwordx2 v[0:1], v[2:3], off
	v_add_u32_e32 v0, 0x50, v28
	v_mov_b32_e32 v1, v29
	v_lshl_add_u64 v[0:1], v[0:1], 3, v[8:9]
	s_waitcnt lgkmcnt(0)
	global_store_dwordx2 v[0:1], v[4:5], off
	v_add_u32_e32 v0, 0x58, v28
	v_mov_b32_e32 v1, v29
	v_lshl_add_u64 v[4:5], v[0:1], 3, v[8:9]
	ds_read2_b64 v[0:3], v10 offset0:96 offset1:104
	global_store_dwordx2 v[4:5], v[6:7], off
	v_add_u32_e32 v4, 0x60, v28
	v_mov_b32_e32 v5, v29
	v_lshl_add_u64 v[4:5], v[4:5], 3, v[8:9]
	v_add_u32_e32 v28, 0x68, v28
	s_waitcnt lgkmcnt(0)
	global_store_dwordx2 v[4:5], v[0:1], off
	v_lshl_add_u64 v[0:1], v[28:29], 3, v[8:9]
	global_store_dwordx2 v[0:1], v[2:3], off
.LBB0_16:
	s_endpgm
	.section	.rodata,"a",@progbits
	.p2align	6, 0x0
	.amdhsa_kernel fft_rtc_fwd_len112_factors_2_7_8_wgs_64_tpt_8_dim1_sp_op_CI_CI_unitstride_sbrr_C2R_dirReg
		.amdhsa_group_segment_fixed_size 0
		.amdhsa_private_segment_fixed_size 0
		.amdhsa_kernarg_size 96
		.amdhsa_user_sgpr_count 2
		.amdhsa_user_sgpr_dispatch_ptr 0
		.amdhsa_user_sgpr_queue_ptr 0
		.amdhsa_user_sgpr_kernarg_segment_ptr 1
		.amdhsa_user_sgpr_dispatch_id 0
		.amdhsa_user_sgpr_kernarg_preload_length 0
		.amdhsa_user_sgpr_kernarg_preload_offset 0
		.amdhsa_user_sgpr_private_segment_size 0
		.amdhsa_uses_dynamic_stack 0
		.amdhsa_enable_private_segment 0
		.amdhsa_system_sgpr_workgroup_id_x 1
		.amdhsa_system_sgpr_workgroup_id_y 0
		.amdhsa_system_sgpr_workgroup_id_z 0
		.amdhsa_system_sgpr_workgroup_info 0
		.amdhsa_system_vgpr_workitem_id 0
		.amdhsa_next_free_vgpr 70
		.amdhsa_next_free_sgpr 20
		.amdhsa_accum_offset 72
		.amdhsa_reserve_vcc 1
		.amdhsa_float_round_mode_32 0
		.amdhsa_float_round_mode_16_64 0
		.amdhsa_float_denorm_mode_32 3
		.amdhsa_float_denorm_mode_16_64 3
		.amdhsa_dx10_clamp 1
		.amdhsa_ieee_mode 1
		.amdhsa_fp16_overflow 0
		.amdhsa_tg_split 0
		.amdhsa_exception_fp_ieee_invalid_op 0
		.amdhsa_exception_fp_denorm_src 0
		.amdhsa_exception_fp_ieee_div_zero 0
		.amdhsa_exception_fp_ieee_overflow 0
		.amdhsa_exception_fp_ieee_underflow 0
		.amdhsa_exception_fp_ieee_inexact 0
		.amdhsa_exception_int_div_zero 0
	.end_amdhsa_kernel
	.text
.Lfunc_end0:
	.size	fft_rtc_fwd_len112_factors_2_7_8_wgs_64_tpt_8_dim1_sp_op_CI_CI_unitstride_sbrr_C2R_dirReg, .Lfunc_end0-fft_rtc_fwd_len112_factors_2_7_8_wgs_64_tpt_8_dim1_sp_op_CI_CI_unitstride_sbrr_C2R_dirReg
                                        ; -- End function
	.section	.AMDGPU.csdata,"",@progbits
; Kernel info:
; codeLenInByte = 5504
; NumSgprs: 26
; NumVgprs: 70
; NumAgprs: 0
; TotalNumVgprs: 70
; ScratchSize: 0
; MemoryBound: 0
; FloatMode: 240
; IeeeMode: 1
; LDSByteSize: 0 bytes/workgroup (compile time only)
; SGPRBlocks: 3
; VGPRBlocks: 8
; NumSGPRsForWavesPerEU: 26
; NumVGPRsForWavesPerEU: 70
; AccumOffset: 72
; Occupancy: 7
; WaveLimiterHint : 1
; COMPUTE_PGM_RSRC2:SCRATCH_EN: 0
; COMPUTE_PGM_RSRC2:USER_SGPR: 2
; COMPUTE_PGM_RSRC2:TRAP_HANDLER: 0
; COMPUTE_PGM_RSRC2:TGID_X_EN: 1
; COMPUTE_PGM_RSRC2:TGID_Y_EN: 0
; COMPUTE_PGM_RSRC2:TGID_Z_EN: 0
; COMPUTE_PGM_RSRC2:TIDIG_COMP_CNT: 0
; COMPUTE_PGM_RSRC3_GFX90A:ACCUM_OFFSET: 17
; COMPUTE_PGM_RSRC3_GFX90A:TG_SPLIT: 0
	.text
	.p2alignl 6, 3212836864
	.fill 256, 4, 3212836864
	.type	__hip_cuid_8723aa0d034449ca,@object ; @__hip_cuid_8723aa0d034449ca
	.section	.bss,"aw",@nobits
	.globl	__hip_cuid_8723aa0d034449ca
__hip_cuid_8723aa0d034449ca:
	.byte	0                               ; 0x0
	.size	__hip_cuid_8723aa0d034449ca, 1

	.ident	"AMD clang version 19.0.0git (https://github.com/RadeonOpenCompute/llvm-project roc-6.4.0 25133 c7fe45cf4b819c5991fe208aaa96edf142730f1d)"
	.section	".note.GNU-stack","",@progbits
	.addrsig
	.addrsig_sym __hip_cuid_8723aa0d034449ca
	.amdgpu_metadata
---
amdhsa.kernels:
  - .agpr_count:     0
    .args:
      - .actual_access:  read_only
        .address_space:  global
        .offset:         0
        .size:           8
        .value_kind:     global_buffer
      - .actual_access:  read_only
        .address_space:  global
        .offset:         8
        .size:           8
        .value_kind:     global_buffer
      - .actual_access:  read_only
        .address_space:  global
        .offset:         16
        .size:           8
        .value_kind:     global_buffer
      - .actual_access:  read_only
        .address_space:  global
        .offset:         24
        .size:           8
        .value_kind:     global_buffer
      - .offset:         32
        .size:           8
        .value_kind:     by_value
      - .actual_access:  read_only
        .address_space:  global
        .offset:         40
        .size:           8
        .value_kind:     global_buffer
      - .actual_access:  read_only
        .address_space:  global
        .offset:         48
        .size:           8
        .value_kind:     global_buffer
      - .offset:         56
        .size:           4
        .value_kind:     by_value
      - .actual_access:  read_only
        .address_space:  global
        .offset:         64
        .size:           8
        .value_kind:     global_buffer
      - .actual_access:  read_only
        .address_space:  global
        .offset:         72
        .size:           8
        .value_kind:     global_buffer
      - .actual_access:  read_only
        .address_space:  global
        .offset:         80
        .size:           8
        .value_kind:     global_buffer
      - .actual_access:  write_only
        .address_space:  global
        .offset:         88
        .size:           8
        .value_kind:     global_buffer
    .group_segment_fixed_size: 0
    .kernarg_segment_align: 8
    .kernarg_segment_size: 96
    .language:       OpenCL C
    .language_version:
      - 2
      - 0
    .max_flat_workgroup_size: 64
    .name:           fft_rtc_fwd_len112_factors_2_7_8_wgs_64_tpt_8_dim1_sp_op_CI_CI_unitstride_sbrr_C2R_dirReg
    .private_segment_fixed_size: 0
    .sgpr_count:     26
    .sgpr_spill_count: 0
    .symbol:         fft_rtc_fwd_len112_factors_2_7_8_wgs_64_tpt_8_dim1_sp_op_CI_CI_unitstride_sbrr_C2R_dirReg.kd
    .uniform_work_group_size: 1
    .uses_dynamic_stack: false
    .vgpr_count:     70
    .vgpr_spill_count: 0
    .wavefront_size: 64
amdhsa.target:   amdgcn-amd-amdhsa--gfx950
amdhsa.version:
  - 1
  - 2
...

	.end_amdgpu_metadata
